;; amdgpu-corpus repo=ROCm/rocFFT kind=compiled arch=gfx950 opt=O3
	.text
	.amdgcn_target "amdgcn-amd-amdhsa--gfx950"
	.amdhsa_code_object_version 6
	.protected	fft_rtc_fwd_len312_factors_13_4_3_2_wgs_52_tpt_26_dp_op_CI_CI_unitstride_sbrr_dirReg ; -- Begin function fft_rtc_fwd_len312_factors_13_4_3_2_wgs_52_tpt_26_dp_op_CI_CI_unitstride_sbrr_dirReg
	.globl	fft_rtc_fwd_len312_factors_13_4_3_2_wgs_52_tpt_26_dp_op_CI_CI_unitstride_sbrr_dirReg
	.p2align	8
	.type	fft_rtc_fwd_len312_factors_13_4_3_2_wgs_52_tpt_26_dp_op_CI_CI_unitstride_sbrr_dirReg,@function
fft_rtc_fwd_len312_factors_13_4_3_2_wgs_52_tpt_26_dp_op_CI_CI_unitstride_sbrr_dirReg: ; @fft_rtc_fwd_len312_factors_13_4_3_2_wgs_52_tpt_26_dp_op_CI_CI_unitstride_sbrr_dirReg
; %bb.0:
	s_load_dwordx4 s[4:7], s[0:1], 0x58
	s_load_dwordx4 s[8:11], s[0:1], 0x0
	;; [unrolled: 1-line block ×3, first 2 shown]
	v_mul_u32_u24_e32 v1, 0x9d9, v0
	v_lshrrev_b32_e32 v58, 16, v1
	v_lshl_add_u32 v6, s2, 1, v58
	v_mov_b32_e32 v2, 0
	s_waitcnt lgkmcnt(0)
	v_cmp_lt_u64_e64 s[2:3], s[10:11], 2
	v_mov_b32_e32 v7, v2
	s_and_b64 vcc, exec, s[2:3]
	v_mov_b64_e32 v[4:5], 0
	s_cbranch_vccnz .LBB0_8
; %bb.1:
	s_load_dwordx2 s[2:3], s[0:1], 0x10
	s_add_u32 s16, s14, 8
	s_addc_u32 s17, s15, 0
	s_add_u32 s18, s12, 8
	s_addc_u32 s19, s13, 0
	s_waitcnt lgkmcnt(0)
	s_add_u32 s20, s2, 8
	v_mov_b64_e32 v[4:5], 0
	s_addc_u32 s21, s3, 0
	s_mov_b64 s[22:23], 1
	v_mov_b64_e32 v[52:53], v[4:5]
.LBB0_2:                                ; =>This Inner Loop Header: Depth=1
	s_load_dwordx2 s[24:25], s[20:21], 0x0
                                        ; implicit-def: $vgpr56_vgpr57
	s_waitcnt lgkmcnt(0)
	v_or_b32_e32 v3, s25, v7
	v_cmp_ne_u64_e32 vcc, 0, v[2:3]
	s_and_saveexec_b64 s[2:3], vcc
	s_xor_b64 s[26:27], exec, s[2:3]
	s_cbranch_execz .LBB0_4
; %bb.3:                                ;   in Loop: Header=BB0_2 Depth=1
	v_cvt_f32_u32_e32 v1, s24
	v_cvt_f32_u32_e32 v3, s25
	s_sub_u32 s2, 0, s24
	s_subb_u32 s3, 0, s25
	v_fmac_f32_e32 v1, 0x4f800000, v3
	v_rcp_f32_e32 v1, v1
	s_nop 0
	v_mul_f32_e32 v1, 0x5f7ffffc, v1
	v_mul_f32_e32 v3, 0x2f800000, v1
	v_trunc_f32_e32 v3, v3
	v_fmac_f32_e32 v1, 0xcf800000, v3
	v_cvt_u32_f32_e32 v3, v3
	v_cvt_u32_f32_e32 v1, v1
	v_mul_lo_u32 v8, s2, v3
	v_mul_hi_u32 v10, s2, v1
	v_mul_lo_u32 v9, s3, v1
	v_add_u32_e32 v10, v10, v8
	v_mul_lo_u32 v12, s2, v1
	v_add_u32_e32 v13, v10, v9
	v_mul_hi_u32 v8, v1, v12
	v_mul_hi_u32 v11, v1, v13
	v_mul_lo_u32 v10, v1, v13
	v_mov_b32_e32 v9, v2
	v_lshl_add_u64 v[8:9], v[8:9], 0, v[10:11]
	v_mul_hi_u32 v11, v3, v12
	v_mul_lo_u32 v12, v3, v12
	v_add_co_u32_e32 v8, vcc, v8, v12
	v_mul_hi_u32 v10, v3, v13
	s_nop 0
	v_addc_co_u32_e32 v8, vcc, v9, v11, vcc
	v_mov_b32_e32 v9, v2
	s_nop 0
	v_addc_co_u32_e32 v11, vcc, 0, v10, vcc
	v_mul_lo_u32 v10, v3, v13
	v_lshl_add_u64 v[8:9], v[8:9], 0, v[10:11]
	v_add_co_u32_e32 v1, vcc, v1, v8
	v_mul_lo_u32 v10, s2, v1
	s_nop 0
	v_addc_co_u32_e32 v3, vcc, v3, v9, vcc
	v_mul_lo_u32 v8, s2, v3
	v_mul_hi_u32 v9, s2, v1
	v_add_u32_e32 v8, v9, v8
	v_mul_lo_u32 v9, s3, v1
	v_add_u32_e32 v12, v8, v9
	v_mul_hi_u32 v14, v3, v10
	v_mul_lo_u32 v15, v3, v10
	v_mul_hi_u32 v9, v1, v12
	v_mul_lo_u32 v8, v1, v12
	v_mul_hi_u32 v10, v1, v10
	v_mov_b32_e32 v11, v2
	v_lshl_add_u64 v[8:9], v[10:11], 0, v[8:9]
	v_add_co_u32_e32 v8, vcc, v8, v15
	v_mul_hi_u32 v13, v3, v12
	s_nop 0
	v_addc_co_u32_e32 v8, vcc, v9, v14, vcc
	v_mul_lo_u32 v10, v3, v12
	s_nop 0
	v_addc_co_u32_e32 v11, vcc, 0, v13, vcc
	v_mov_b32_e32 v9, v2
	v_lshl_add_u64 v[8:9], v[8:9], 0, v[10:11]
	v_add_co_u32_e32 v1, vcc, v1, v8
	v_mul_hi_u32 v10, v6, v1
	s_nop 0
	v_addc_co_u32_e32 v3, vcc, v3, v9, vcc
	v_mad_u64_u32 v[8:9], s[2:3], v6, v3, 0
	v_mov_b32_e32 v11, v2
	v_lshl_add_u64 v[8:9], v[10:11], 0, v[8:9]
	v_mad_u64_u32 v[12:13], s[2:3], v7, v1, 0
	v_add_co_u32_e32 v1, vcc, v8, v12
	v_mad_u64_u32 v[10:11], s[2:3], v7, v3, 0
	s_nop 0
	v_addc_co_u32_e32 v8, vcc, v9, v13, vcc
	v_mov_b32_e32 v9, v2
	s_nop 0
	v_addc_co_u32_e32 v11, vcc, 0, v11, vcc
	v_lshl_add_u64 v[8:9], v[8:9], 0, v[10:11]
	v_mul_lo_u32 v1, s25, v8
	v_mul_lo_u32 v3, s24, v9
	v_mad_u64_u32 v[10:11], s[2:3], s24, v8, 0
	v_add3_u32 v1, v11, v3, v1
	v_sub_u32_e32 v3, v7, v1
	v_mov_b32_e32 v11, s25
	v_sub_co_u32_e32 v14, vcc, v6, v10
	v_lshl_add_u64 v[12:13], v[8:9], 0, 1
	s_nop 0
	v_subb_co_u32_e64 v3, s[2:3], v3, v11, vcc
	v_subrev_co_u32_e64 v10, s[2:3], s24, v14
	v_subb_co_u32_e32 v1, vcc, v7, v1, vcc
	s_nop 0
	v_subbrev_co_u32_e64 v3, s[2:3], 0, v3, s[2:3]
	v_cmp_le_u32_e64 s[2:3], s25, v3
	v_cmp_le_u32_e32 vcc, s25, v1
	s_nop 0
	v_cndmask_b32_e64 v11, 0, -1, s[2:3]
	v_cmp_le_u32_e64 s[2:3], s24, v10
	s_nop 1
	v_cndmask_b32_e64 v10, 0, -1, s[2:3]
	v_cmp_eq_u32_e64 s[2:3], s25, v3
	s_nop 1
	v_cndmask_b32_e64 v3, v11, v10, s[2:3]
	v_lshl_add_u64 v[10:11], v[8:9], 0, 2
	v_cmp_ne_u32_e64 s[2:3], 0, v3
	s_nop 1
	v_cndmask_b32_e64 v3, v13, v11, s[2:3]
	v_cndmask_b32_e64 v11, 0, -1, vcc
	v_cmp_le_u32_e32 vcc, s24, v14
	s_nop 1
	v_cndmask_b32_e64 v13, 0, -1, vcc
	v_cmp_eq_u32_e32 vcc, s25, v1
	s_nop 1
	v_cndmask_b32_e32 v1, v11, v13, vcc
	v_cmp_ne_u32_e32 vcc, 0, v1
	v_cndmask_b32_e64 v1, v12, v10, s[2:3]
	s_nop 0
	v_cndmask_b32_e32 v57, v9, v3, vcc
	v_cndmask_b32_e32 v56, v8, v1, vcc
.LBB0_4:                                ;   in Loop: Header=BB0_2 Depth=1
	s_andn2_saveexec_b64 s[2:3], s[26:27]
	s_cbranch_execz .LBB0_6
; %bb.5:                                ;   in Loop: Header=BB0_2 Depth=1
	v_cvt_f32_u32_e32 v1, s24
	s_sub_i32 s26, 0, s24
	v_mov_b32_e32 v57, v2
	v_rcp_iflag_f32_e32 v1, v1
	s_nop 0
	v_mul_f32_e32 v1, 0x4f7ffffe, v1
	v_cvt_u32_f32_e32 v1, v1
	v_mul_lo_u32 v3, s26, v1
	v_mul_hi_u32 v3, v1, v3
	v_add_u32_e32 v1, v1, v3
	v_mul_hi_u32 v1, v6, v1
	v_mul_lo_u32 v3, v1, s24
	v_sub_u32_e32 v3, v6, v3
	v_add_u32_e32 v8, 1, v1
	v_subrev_u32_e32 v9, s24, v3
	v_cmp_le_u32_e32 vcc, s24, v3
	s_nop 1
	v_cndmask_b32_e32 v3, v3, v9, vcc
	v_cndmask_b32_e32 v1, v1, v8, vcc
	v_add_u32_e32 v8, 1, v1
	v_cmp_le_u32_e32 vcc, s24, v3
	s_nop 1
	v_cndmask_b32_e32 v56, v1, v8, vcc
.LBB0_6:                                ;   in Loop: Header=BB0_2 Depth=1
	s_or_b64 exec, exec, s[2:3]
	v_mad_u64_u32 v[8:9], s[2:3], v56, s24, 0
	s_load_dwordx2 s[2:3], s[18:19], 0x0
	v_mul_lo_u32 v1, v57, s24
	v_mul_lo_u32 v3, v56, s25
	s_load_dwordx2 s[24:25], s[16:17], 0x0
	s_add_u32 s22, s22, 1
	v_add3_u32 v1, v9, v3, v1
	v_sub_co_u32_e32 v3, vcc, v6, v8
	s_addc_u32 s23, s23, 0
	s_nop 0
	v_subb_co_u32_e32 v1, vcc, v7, v1, vcc
	s_add_u32 s16, s16, 8
	s_waitcnt lgkmcnt(0)
	v_mul_lo_u32 v6, s2, v1
	v_mul_lo_u32 v7, s3, v3
	v_mad_u64_u32 v[4:5], s[2:3], s2, v3, v[4:5]
	s_addc_u32 s17, s17, 0
	v_add3_u32 v5, v7, v5, v6
	v_mul_lo_u32 v1, s24, v1
	v_mul_lo_u32 v6, s25, v3
	v_mad_u64_u32 v[52:53], s[2:3], s24, v3, v[52:53]
	s_add_u32 s18, s18, 8
	v_add3_u32 v53, v6, v53, v1
	s_addc_u32 s19, s19, 0
	v_mov_b64_e32 v[6:7], s[10:11]
	s_add_u32 s20, s20, 8
	v_cmp_ge_u64_e32 vcc, s[22:23], v[6:7]
	s_addc_u32 s21, s21, 0
	s_cbranch_vccnz .LBB0_9
; %bb.7:                                ;   in Loop: Header=BB0_2 Depth=1
	v_mov_b64_e32 v[6:7], v[56:57]
	s_branch .LBB0_2
.LBB0_8:
	v_mov_b64_e32 v[52:53], v[4:5]
	v_mov_b64_e32 v[56:57], v[6:7]
.LBB0_9:
	s_load_dwordx2 s[0:1], s[0:1], 0x28
	s_mov_b32 s16, 0x9d89d8a
	v_mul_hi_u32 v1, v0, s16
	v_mul_u32_u24_e32 v1, 26, v1
	s_lshl_b64 s[2:3], s[10:11], 3
	v_sub_u32_e32 v54, v0, v1
	s_add_u32 s10, s14, s2
	s_waitcnt lgkmcnt(0)
	v_cmp_gt_u64_e32 vcc, s[0:1], v[56:57]
	v_cmp_gt_u32_e64 s[0:1], 24, v54
	s_addc_u32 s11, s15, s3
	s_and_b64 s[16:17], vcc, s[0:1]
                                        ; implicit-def: $vgpr6_vgpr7
                                        ; implicit-def: $vgpr10_vgpr11
                                        ; implicit-def: $vgpr22_vgpr23
                                        ; implicit-def: $vgpr26_vgpr27
                                        ; implicit-def: $vgpr34_vgpr35
                                        ; implicit-def: $vgpr42_vgpr43
                                        ; implicit-def: $vgpr50_vgpr51
                                        ; implicit-def: $vgpr46_vgpr47
                                        ; implicit-def: $vgpr38_vgpr39
                                        ; implicit-def: $vgpr30_vgpr31
                                        ; implicit-def: $vgpr18_vgpr19
                                        ; implicit-def: $vgpr14_vgpr15
                                        ; implicit-def: $vgpr2_vgpr3
	s_and_saveexec_b64 s[14:15], s[16:17]
	s_cbranch_execz .LBB0_11
; %bb.10:
	s_add_u32 s2, s12, s2
	s_addc_u32 s3, s13, s3
	s_load_dwordx2 s[2:3], s[2:3], 0x0
	v_mov_b32_e32 v55, 0
	s_waitcnt lgkmcnt(0)
	v_mul_lo_u32 v2, s3, v56
	v_mul_lo_u32 v3, s2, v57
	v_mad_u64_u32 v[0:1], s[2:3], s2, v56, 0
	v_add3_u32 v1, v1, v3, v2
	v_lshl_add_u64 v[0:1], v[0:1], 4, s[4:5]
	v_lshl_add_u64 v[48:49], v[4:5], 4, v[0:1]
	;; [unrolled: 1-line block ×3, first 2 shown]
	global_load_dwordx4 v[0:3], v[50:51], off
	global_load_dwordx4 v[4:7], v[50:51], off offset:384
	global_load_dwordx4 v[8:11], v[50:51], off offset:768
	;; [unrolled: 1-line block ×9, first 2 shown]
	s_movk_i32 s2, 0x1000
	v_add_co_u32_e64 v60, s[2:3], s2, v50
	s_nop 1
	v_addc_co_u32_e64 v61, s[2:3], 0, v51, s[2:3]
	global_load_dwordx4 v[40:43], v[50:51], off offset:3840
	global_load_dwordx4 v[44:47], v[60:61], off offset:128
	v_or_b32_e32 v50, 0x120, v54
	v_mov_b32_e32 v51, v55
	v_lshl_add_u64 v[48:49], v[50:51], 4, v[48:49]
	global_load_dwordx4 v[48:51], v[48:49], off
.LBB0_11:
	s_or_b64 exec, exec, s[14:15]
	v_and_b32_e32 v55, 1, v58
	v_mov_b32_e32 v58, 0x138
	v_cmp_eq_u32_e64 s[2:3], 1, v55
	s_nop 1
	v_cndmask_b32_e64 v55, 0, v58, s[2:3]
	s_and_saveexec_b64 s[2:3], s[0:1]
	s_cbranch_execz .LBB0_13
; %bb.12:
	s_waitcnt vmcnt(11)
	v_add_f64 v[58:59], v[6:7], v[2:3]
	s_waitcnt vmcnt(10)
	v_add_f64 v[58:59], v[10:11], v[58:59]
	;; [unrolled: 2-line block ×6, first 2 shown]
	v_add_f64 v[58:59], v[4:5], v[0:1]
	v_add_f64 v[58:59], v[8:9], v[58:59]
	;; [unrolled: 1-line block ×6, first 2 shown]
	s_waitcnt vmcnt(5)
	v_add_f64 v[66:67], v[24:25], -v[28:29]
	v_add_f64 v[58:59], v[24:25], v[28:29]
	v_add_f64 v[24:25], v[30:31], v[62:63]
	;; [unrolled: 1-line block ×3, first 2 shown]
	v_add_f64 v[64:65], v[26:27], -v[30:31]
	v_add_f64 v[26:27], v[28:29], v[68:69]
	s_waitcnt vmcnt(4)
	v_add_f64 v[72:73], v[20:21], -v[36:37]
	v_add_f64 v[28:29], v[20:21], v[36:37]
	v_add_f64 v[20:21], v[38:39], v[24:25]
	;; [unrolled: 1-line block ×3, first 2 shown]
	v_add_f64 v[68:69], v[22:23], -v[38:39]
	v_add_f64 v[22:23], v[36:37], v[26:27]
	s_waitcnt vmcnt(3)
	v_add_f64 v[76:77], v[16:17], -v[32:33]
	v_add_f64 v[30:31], v[32:33], v[16:17]
	v_add_f64 v[16:17], v[34:35], v[20:21]
	s_mov_b32 s16, 0x4bc48dbf
	v_add_f64 v[36:37], v[34:35], v[18:19]
	v_add_f64 v[70:71], v[18:19], -v[34:35]
	v_add_f64 v[18:19], v[32:33], v[22:23]
	s_waitcnt vmcnt(2)
	v_add_f64 v[80:81], v[12:13], -v[40:41]
	v_add_f64 v[32:33], v[40:41], v[12:13]
	v_add_f64 v[12:13], v[42:43], v[16:17]
	s_waitcnt vmcnt(0)
	v_add_f64 v[84:85], v[4:5], -v[48:49]
	s_mov_b32 s17, 0xbfcea1e5
	s_mov_b32 s0, 0x93053d00
	v_add_f64 v[38:39], v[42:43], v[14:15]
	v_add_f64 v[74:75], v[14:15], -v[42:43]
	v_add_f64 v[14:15], v[40:41], v[18:19]
	v_add_f64 v[82:83], v[8:9], -v[44:45]
	v_add_f64 v[34:35], v[8:9], v[44:45]
	v_add_f64 v[8:9], v[46:47], v[12:13]
	;; [unrolled: 1-line block ×3, first 2 shown]
	s_mov_b32 s23, 0x3fddbe06
	s_mov_b32 s22, 0x4267c47c
	;; [unrolled: 1-line block ×4, first 2 shown]
	v_mul_f64 v[12:13], v[84:85], s[16:17]
	s_mov_b32 s20, 0x24c2f84
	v_add_f64 v[40:41], v[10:11], v[46:47]
	v_add_f64 v[78:79], v[10:11], -v[46:47]
	v_add_f64 v[10:11], v[44:45], v[14:15]
	v_add_f64 v[46:47], v[6:7], -v[50:51]
	v_add_f64 v[6:7], v[50:51], v[8:9]
	s_mov_b32 s15, 0x3fec55a7
	v_fma_f64 v[8:9], v[42:43], s[0:1], -v[12:13]
	v_mul_f64 v[14:15], v[82:83], s[22:23]
	s_mov_b32 s21, 0xbfe5384d
	s_mov_b32 s4, 0xd0032e0c
	;; [unrolled: 1-line block ×3, first 2 shown]
	v_add_f64 v[44:45], v[4:5], v[48:49]
	v_add_f64 v[4:5], v[48:49], v[10:11]
	;; [unrolled: 1-line block ×3, first 2 shown]
	v_fma_f64 v[10:11], v[40:41], s[14:15], -v[14:15]
	s_mov_b32 s5, 0xbfe7f3cc
	v_mul_f64 v[16:17], v[80:81], s[20:21]
	s_mov_b32 s37, 0x3fea55e2
	s_mov_b32 s12, 0x1ea71119
	;; [unrolled: 1-line block ×3, first 2 shown]
	v_add_f64 v[8:9], v[10:11], v[8:9]
	v_fma_f64 v[10:11], v[38:39], s[4:5], -v[16:17]
	s_mov_b32 s13, 0x3fe22d96
	v_mul_f64 v[18:19], v[76:77], s[36:37]
	s_mov_b32 s27, 0xbfedeba7
	s_mov_b32 s18, 0xb2365da1
	v_add_f64 v[8:9], v[10:11], v[8:9]
	v_fma_f64 v[10:11], v[36:37], s[12:13], -v[18:19]
	s_mov_b32 s19, 0xbfd6b1d8
	v_mul_f64 v[20:21], v[72:73], s[26:27]
	v_add_f64 v[8:9], v[10:11], v[8:9]
	v_fma_f64 v[10:11], v[62:63], s[18:19], -v[20:21]
	v_mul_f64 v[22:23], v[46:47], s[16:17]
	v_add_f64 v[8:9], v[10:11], v[8:9]
	v_fma_f64 v[10:11], s[0:1], v[44:45], v[22:23]
	v_mul_f64 v[24:25], v[78:79], s[22:23]
	v_add_f64 v[10:11], v[10:11], v[0:1]
	v_fma_f64 v[26:27], s[14:15], v[34:35], v[24:25]
	v_fmac_f64_e32 v[12:13], s[0:1], v[42:43]
	v_add_f64 v[10:11], v[26:27], v[10:11]
	v_mul_f64 v[26:27], v[74:75], s[20:21]
	v_fmac_f64_e32 v[14:15], s[14:15], v[40:41]
	v_add_f64 v[12:13], v[12:13], v[2:3]
	v_fma_f64 v[48:49], s[4:5], v[32:33], v[26:27]
	v_add_f64 v[12:13], v[14:15], v[12:13]
	v_fmac_f64_e32 v[16:17], s[4:5], v[38:39]
	v_add_f64 v[10:11], v[48:49], v[10:11]
	v_mul_f64 v[48:49], v[70:71], s[36:37]
	v_add_f64 v[12:13], v[16:17], v[12:13]
	v_fma_f64 v[16:17], v[44:45], s[0:1], -v[22:23]
	v_fma_f64 v[50:51], s[12:13], v[30:31], v[48:49]
	s_mov_b32 s30, 0x66966769
	v_fma_f64 v[14:15], v[34:35], s[14:15], -v[24:25]
	v_add_f64 v[16:17], v[16:17], v[0:1]
	v_add_f64 v[10:11], v[50:51], v[10:11]
	v_mul_f64 v[50:51], v[68:69], s[26:27]
	s_mov_b32 s31, 0x3fefc445
	s_mov_b32 s24, 0xebaa3ed8
	v_fmac_f64_e32 v[18:19], s[12:13], v[36:37]
	v_add_f64 v[14:15], v[14:15], v[16:17]
	v_fma_f64 v[16:17], v[32:33], s[4:5], -v[26:27]
	v_fma_f64 v[86:87], s[18:19], v[28:29], v[50:51]
	s_mov_b32 s25, 0x3fbedb7d
	v_mul_f64 v[88:89], v[66:67], s[30:31]
	v_add_f64 v[12:13], v[18:19], v[12:13]
	v_fmac_f64_e32 v[20:21], s[18:19], v[62:63]
	v_add_f64 v[14:15], v[16:17], v[14:15]
	v_fma_f64 v[16:17], v[30:31], s[12:13], -v[48:49]
	v_add_f64 v[86:87], v[86:87], v[10:11]
	v_fma_f64 v[10:11], v[60:61], s[24:25], -v[88:89]
	v_mul_f64 v[90:91], v[64:65], s[30:31]
	v_add_f64 v[12:13], v[20:21], v[12:13]
	v_add_f64 v[14:15], v[16:17], v[14:15]
	v_fma_f64 v[16:17], v[28:29], s[18:19], -v[50:51]
	v_fmac_f64_e32 v[88:89], s[24:25], v[60:61]
	v_add_f64 v[16:17], v[16:17], v[14:15]
	v_add_f64 v[14:15], v[88:89], v[12:13]
	v_fma_f64 v[12:13], v[58:59], s[24:25], -v[90:91]
	v_mul_f64 v[20:21], v[84:85], s[20:21]
	v_add_f64 v[12:13], v[12:13], v[16:17]
	v_fma_f64 v[16:17], v[42:43], s[4:5], -v[20:21]
	v_mul_f64 v[22:23], v[82:83], s[30:31]
	s_mov_b32 s29, 0xbfea55e2
	s_mov_b32 s28, s36
	v_add_f64 v[16:17], v[16:17], v[2:3]
	v_fma_f64 v[18:19], v[40:41], s[24:25], -v[22:23]
	v_mul_f64 v[24:25], v[80:81], s[28:29]
	s_mov_b32 s41, 0x3fcea1e5
	s_mov_b32 s40, s16
	v_add_f64 v[16:17], v[18:19], v[16:17]
	v_fma_f64 v[18:19], v[38:39], s[12:13], -v[24:25]
	v_mul_f64 v[26:27], v[76:77], s[40:41]
	v_add_f64 v[16:17], v[18:19], v[16:17]
	v_fma_f64 v[18:19], v[36:37], s[0:1], -v[26:27]
	v_mul_f64 v[48:49], v[72:73], s[22:23]
	v_add_f64 v[10:11], v[10:11], v[8:9]
	v_fma_f64 v[8:9], s[24:25], v[58:59], v[90:91]
	v_add_f64 v[16:17], v[18:19], v[16:17]
	v_fma_f64 v[18:19], v[62:63], s[14:15], -v[48:49]
	v_mul_f64 v[50:51], v[46:47], s[20:21]
	v_add_f64 v[8:9], v[8:9], v[86:87]
	v_add_f64 v[16:17], v[18:19], v[16:17]
	v_fma_f64 v[18:19], s[4:5], v[44:45], v[50:51]
	v_mul_f64 v[86:87], v[78:79], s[30:31]
	v_add_f64 v[18:19], v[18:19], v[0:1]
	v_fma_f64 v[88:89], s[24:25], v[34:35], v[86:87]
	v_fmac_f64_e32 v[20:21], s[4:5], v[42:43]
	v_add_f64 v[18:19], v[88:89], v[18:19]
	v_mul_f64 v[88:89], v[74:75], s[28:29]
	v_fmac_f64_e32 v[22:23], s[24:25], v[40:41]
	v_add_f64 v[20:21], v[20:21], v[2:3]
	v_fma_f64 v[90:91], s[12:13], v[32:33], v[88:89]
	v_add_f64 v[20:21], v[22:23], v[20:21]
	v_fmac_f64_e32 v[24:25], s[12:13], v[38:39]
	v_add_f64 v[18:19], v[90:91], v[18:19]
	v_mul_f64 v[90:91], v[70:71], s[40:41]
	v_add_f64 v[20:21], v[24:25], v[20:21]
	v_fma_f64 v[24:25], v[44:45], s[4:5], -v[50:51]
	v_fma_f64 v[92:93], s[0:1], v[30:31], v[90:91]
	v_fma_f64 v[22:23], v[34:35], s[24:25], -v[86:87]
	v_add_f64 v[24:25], v[24:25], v[0:1]
	v_add_f64 v[18:19], v[92:93], v[18:19]
	v_mul_f64 v[92:93], v[68:69], s[22:23]
	v_fmac_f64_e32 v[26:27], s[0:1], v[36:37]
	v_add_f64 v[22:23], v[22:23], v[24:25]
	v_fma_f64 v[24:25], v[32:33], s[12:13], -v[88:89]
	v_fma_f64 v[94:95], s[14:15], v[28:29], v[92:93]
	v_mul_f64 v[96:97], v[66:67], s[26:27]
	v_add_f64 v[20:21], v[26:27], v[20:21]
	v_fmac_f64_e32 v[48:49], s[14:15], v[62:63]
	v_add_f64 v[22:23], v[24:25], v[22:23]
	v_fma_f64 v[24:25], v[30:31], s[0:1], -v[90:91]
	v_add_f64 v[94:95], v[94:95], v[18:19]
	v_fma_f64 v[18:19], v[60:61], s[18:19], -v[96:97]
	v_mul_f64 v[98:99], v[64:65], s[26:27]
	v_add_f64 v[20:21], v[48:49], v[20:21]
	v_add_f64 v[22:23], v[24:25], v[22:23]
	v_fma_f64 v[24:25], v[28:29], s[14:15], -v[92:93]
	v_fmac_f64_e32 v[96:97], s[18:19], v[60:61]
	v_add_f64 v[24:25], v[24:25], v[22:23]
	v_add_f64 v[22:23], v[96:97], v[20:21]
	v_fma_f64 v[20:21], v[58:59], s[18:19], -v[98:99]
	s_mov_b32 s39, 0x3fe5384d
	s_mov_b32 s38, s20
	v_mul_f64 v[48:49], v[84:85], s[26:27]
	v_add_f64 v[20:21], v[20:21], v[24:25]
	v_fma_f64 v[24:25], v[42:43], s[18:19], -v[48:49]
	v_mul_f64 v[50:51], v[82:83], s[38:39]
	v_add_f64 v[24:25], v[24:25], v[2:3]
	v_fma_f64 v[26:27], v[40:41], s[4:5], -v[50:51]
	v_mul_f64 v[86:87], v[80:81], s[22:23]
	s_mov_b32 s35, 0xbfefc445
	s_mov_b32 s34, s30
	v_add_f64 v[24:25], v[26:27], v[24:25]
	v_fma_f64 v[26:27], v[38:39], s[14:15], -v[86:87]
	v_mul_f64 v[88:89], v[76:77], s[34:35]
	v_add_f64 v[24:25], v[26:27], v[24:25]
	v_fma_f64 v[26:27], v[36:37], s[24:25], -v[88:89]
	v_mul_f64 v[90:91], v[72:73], s[40:41]
	v_add_f64 v[18:19], v[18:19], v[16:17]
	v_fma_f64 v[16:17], s[18:19], v[58:59], v[98:99]
	v_add_f64 v[24:25], v[26:27], v[24:25]
	v_fma_f64 v[26:27], v[62:63], s[0:1], -v[90:91]
	v_mul_f64 v[92:93], v[46:47], s[26:27]
	v_add_f64 v[16:17], v[16:17], v[94:95]
	v_add_f64 v[24:25], v[26:27], v[24:25]
	v_fma_f64 v[26:27], s[18:19], v[44:45], v[92:93]
	v_mul_f64 v[94:95], v[78:79], s[38:39]
	v_add_f64 v[26:27], v[26:27], v[0:1]
	v_fma_f64 v[96:97], s[4:5], v[34:35], v[94:95]
	v_fmac_f64_e32 v[48:49], s[18:19], v[42:43]
	v_add_f64 v[26:27], v[96:97], v[26:27]
	v_mul_f64 v[96:97], v[74:75], s[22:23]
	v_fmac_f64_e32 v[50:51], s[4:5], v[40:41]
	v_add_f64 v[48:49], v[48:49], v[2:3]
	v_fma_f64 v[98:99], s[14:15], v[32:33], v[96:97]
	v_add_f64 v[48:49], v[50:51], v[48:49]
	v_fmac_f64_e32 v[86:87], s[14:15], v[38:39]
	v_add_f64 v[26:27], v[98:99], v[26:27]
	v_mul_f64 v[98:99], v[70:71], s[34:35]
	v_add_f64 v[48:49], v[86:87], v[48:49]
	v_fma_f64 v[86:87], v[44:45], s[18:19], -v[92:93]
	v_fma_f64 v[100:101], s[24:25], v[30:31], v[98:99]
	v_fma_f64 v[50:51], v[34:35], s[4:5], -v[94:95]
	v_add_f64 v[86:87], v[86:87], v[0:1]
	v_add_f64 v[26:27], v[100:101], v[26:27]
	v_mul_f64 v[100:101], v[68:69], s[40:41]
	v_fmac_f64_e32 v[88:89], s[24:25], v[36:37]
	v_add_f64 v[50:51], v[50:51], v[86:87]
	v_fma_f64 v[86:87], v[32:33], s[14:15], -v[96:97]
	v_fma_f64 v[102:103], s[0:1], v[28:29], v[100:101]
	v_mul_f64 v[104:105], v[66:67], s[36:37]
	v_add_f64 v[48:49], v[88:89], v[48:49]
	v_fmac_f64_e32 v[90:91], s[0:1], v[62:63]
	v_add_f64 v[50:51], v[86:87], v[50:51]
	v_fma_f64 v[86:87], v[30:31], s[24:25], -v[98:99]
	v_add_f64 v[102:103], v[102:103], v[26:27]
	v_fma_f64 v[26:27], v[60:61], s[12:13], -v[104:105]
	v_mul_f64 v[106:107], v[64:65], s[36:37]
	v_add_f64 v[48:49], v[90:91], v[48:49]
	v_add_f64 v[50:51], v[86:87], v[50:51]
	v_fma_f64 v[86:87], v[28:29], s[0:1], -v[100:101]
	v_fmac_f64_e32 v[104:105], s[12:13], v[60:61]
	v_add_f64 v[86:87], v[86:87], v[50:51]
	v_add_f64 v[50:51], v[104:105], v[48:49]
	v_fma_f64 v[48:49], v[58:59], s[12:13], -v[106:107]
	v_mul_f64 v[90:91], v[84:85], s[34:35]
	v_add_f64 v[48:49], v[48:49], v[86:87]
	v_fma_f64 v[86:87], v[42:43], s[24:25], -v[90:91]
	v_mul_f64 v[92:93], v[82:83], s[16:17]
	s_mov_b32 s37, 0x3fedeba7
	s_mov_b32 s36, s26
	v_add_f64 v[86:87], v[86:87], v[2:3]
	v_fma_f64 v[88:89], v[40:41], s[0:1], -v[92:93]
	v_mul_f64 v[94:95], v[80:81], s[36:37]
	v_add_f64 v[86:87], v[88:89], v[86:87]
	v_fma_f64 v[88:89], v[38:39], s[18:19], -v[94:95]
	v_mul_f64 v[96:97], v[76:77], s[22:23]
	v_add_f64 v[86:87], v[88:89], v[86:87]
	v_fma_f64 v[88:89], v[36:37], s[14:15], -v[96:97]
	v_mul_f64 v[98:99], v[72:73], s[28:29]
	v_add_f64 v[26:27], v[26:27], v[24:25]
	v_fma_f64 v[24:25], s[12:13], v[58:59], v[106:107]
	v_add_f64 v[86:87], v[88:89], v[86:87]
	v_fma_f64 v[88:89], v[62:63], s[12:13], -v[98:99]
	v_mul_f64 v[100:101], v[46:47], s[34:35]
	v_add_f64 v[24:25], v[24:25], v[102:103]
	v_add_f64 v[86:87], v[88:89], v[86:87]
	v_fma_f64 v[88:89], s[24:25], v[44:45], v[100:101]
	v_mul_f64 v[102:103], v[78:79], s[16:17]
	v_add_f64 v[88:89], v[88:89], v[0:1]
	v_fma_f64 v[104:105], s[0:1], v[34:35], v[102:103]
	v_fmac_f64_e32 v[90:91], s[24:25], v[42:43]
	v_add_f64 v[88:89], v[104:105], v[88:89]
	v_mul_f64 v[104:105], v[74:75], s[36:37]
	v_fmac_f64_e32 v[92:93], s[0:1], v[40:41]
	v_add_f64 v[90:91], v[90:91], v[2:3]
	v_fma_f64 v[106:107], s[18:19], v[32:33], v[104:105]
	v_add_f64 v[90:91], v[92:93], v[90:91]
	v_fmac_f64_e32 v[94:95], s[18:19], v[38:39]
	v_add_f64 v[88:89], v[106:107], v[88:89]
	v_mul_f64 v[106:107], v[70:71], s[22:23]
	v_add_f64 v[90:91], v[94:95], v[90:91]
	v_fma_f64 v[94:95], v[44:45], s[24:25], -v[100:101]
	v_fma_f64 v[108:109], s[14:15], v[30:31], v[106:107]
	v_fma_f64 v[92:93], v[34:35], s[0:1], -v[102:103]
	v_add_f64 v[94:95], v[94:95], v[0:1]
	v_add_f64 v[88:89], v[108:109], v[88:89]
	v_mul_f64 v[108:109], v[68:69], s[28:29]
	v_fmac_f64_e32 v[96:97], s[14:15], v[36:37]
	v_add_f64 v[92:93], v[92:93], v[94:95]
	v_fma_f64 v[94:95], v[32:33], s[18:19], -v[104:105]
	v_fma_f64 v[110:111], s[12:13], v[28:29], v[108:109]
	v_mul_f64 v[112:113], v[66:67], s[20:21]
	v_add_f64 v[90:91], v[96:97], v[90:91]
	v_fmac_f64_e32 v[98:99], s[12:13], v[62:63]
	v_add_f64 v[92:93], v[94:95], v[92:93]
	v_fma_f64 v[94:95], v[30:31], s[14:15], -v[106:107]
	v_add_f64 v[110:111], v[110:111], v[88:89]
	v_fma_f64 v[88:89], v[60:61], s[4:5], -v[112:113]
	v_mul_f64 v[114:115], v[64:65], s[20:21]
	v_add_f64 v[90:91], v[98:99], v[90:91]
	v_add_f64 v[92:93], v[94:95], v[92:93]
	v_fma_f64 v[94:95], v[28:29], s[12:13], -v[108:109]
	v_fmac_f64_e32 v[112:113], s[4:5], v[60:61]
	v_add_f64 v[94:95], v[94:95], v[92:93]
	v_add_f64 v[92:93], v[112:113], v[90:91]
	v_fma_f64 v[90:91], v[58:59], s[4:5], -v[114:115]
	v_mul_f64 v[98:99], v[84:85], s[28:29]
	v_add_f64 v[90:91], v[90:91], v[94:95]
	v_fma_f64 v[94:95], v[42:43], s[12:13], -v[98:99]
	v_mul_f64 v[100:101], v[82:83], s[26:27]
	;; [unrolled: 3-line block ×5, first 2 shown]
	v_add_f64 v[88:89], v[88:89], v[86:87]
	v_fma_f64 v[86:87], s[4:5], v[58:59], v[114:115]
	v_add_f64 v[94:95], v[96:97], v[94:95]
	v_fma_f64 v[96:97], v[62:63], s[24:25], -v[106:107]
	v_mul_f64 v[108:109], v[46:47], s[28:29]
	v_add_f64 v[86:87], v[86:87], v[110:111]
	v_add_f64 v[94:95], v[96:97], v[94:95]
	v_fma_f64 v[96:97], s[12:13], v[44:45], v[108:109]
	v_mul_f64 v[110:111], v[78:79], s[26:27]
	v_add_f64 v[96:97], v[96:97], v[0:1]
	v_fma_f64 v[112:113], s[18:19], v[34:35], v[110:111]
	v_fmac_f64_e32 v[98:99], s[12:13], v[42:43]
	v_add_f64 v[96:97], v[112:113], v[96:97]
	v_mul_f64 v[112:113], v[74:75], s[16:17]
	v_fmac_f64_e32 v[100:101], s[18:19], v[40:41]
	v_add_f64 v[98:99], v[98:99], v[2:3]
	v_fma_f64 v[114:115], s[0:1], v[32:33], v[112:113]
	v_add_f64 v[98:99], v[100:101], v[98:99]
	v_fmac_f64_e32 v[102:103], s[0:1], v[38:39]
	v_add_f64 v[96:97], v[114:115], v[96:97]
	v_mul_f64 v[114:115], v[70:71], s[38:39]
	v_add_f64 v[98:99], v[102:103], v[98:99]
	v_fma_f64 v[102:103], v[44:45], s[12:13], -v[108:109]
	v_fma_f64 v[116:117], s[4:5], v[30:31], v[114:115]
	v_fma_f64 v[100:101], v[34:35], s[18:19], -v[110:111]
	v_add_f64 v[102:103], v[102:103], v[0:1]
	v_add_f64 v[96:97], v[116:117], v[96:97]
	v_mul_f64 v[116:117], v[68:69], s[30:31]
	v_fmac_f64_e32 v[104:105], s[4:5], v[36:37]
	v_add_f64 v[100:101], v[100:101], v[102:103]
	v_fma_f64 v[102:103], v[32:33], s[0:1], -v[112:113]
	v_fma_f64 v[118:119], s[24:25], v[28:29], v[116:117]
	v_mul_f64 v[120:121], v[66:67], s[22:23]
	v_add_f64 v[98:99], v[104:105], v[98:99]
	v_fmac_f64_e32 v[106:107], s[24:25], v[62:63]
	v_add_f64 v[100:101], v[102:103], v[100:101]
	v_fma_f64 v[102:103], v[30:31], s[4:5], -v[114:115]
	v_add_f64 v[118:119], v[118:119], v[96:97]
	v_fma_f64 v[96:97], v[60:61], s[14:15], -v[120:121]
	v_mul_f64 v[122:123], v[64:65], s[22:23]
	v_add_f64 v[98:99], v[106:107], v[98:99]
	v_add_f64 v[100:101], v[102:103], v[100:101]
	v_fma_f64 v[102:103], v[28:29], s[24:25], -v[116:117]
	v_fmac_f64_e32 v[120:121], s[14:15], v[60:61]
	s_mov_b32 s23, 0xbfddbe06
	v_add_f64 v[102:103], v[102:103], v[100:101]
	v_add_f64 v[100:101], v[120:121], v[98:99]
	v_fma_f64 v[98:99], v[58:59], s[14:15], -v[122:123]
	v_mul_f64 v[84:85], v[84:85], s[22:23]
	v_add_f64 v[98:99], v[98:99], v[102:103]
	v_mul_f64 v[82:83], v[82:83], s[28:29]
	v_fma_f64 v[102:103], v[42:43], s[14:15], -v[84:85]
	v_add_f64 v[102:103], v[102:103], v[2:3]
	v_fma_f64 v[104:105], v[40:41], s[12:13], -v[82:83]
	v_mul_f64 v[80:81], v[80:81], s[34:35]
	v_add_f64 v[102:103], v[104:105], v[102:103]
	v_fma_f64 v[104:105], v[38:39], s[24:25], -v[80:81]
	v_mul_f64 v[76:77], v[76:77], s[26:27]
	;; [unrolled: 3-line block ×4, first 2 shown]
	v_add_f64 v[102:103], v[104:105], v[102:103]
	v_mul_f64 v[78:79], v[78:79], s[28:29]
	v_fma_f64 v[104:105], s[14:15], v[44:45], v[46:47]
	v_add_f64 v[104:105], v[104:105], v[0:1]
	v_fma_f64 v[106:107], s[12:13], v[34:35], v[78:79]
	v_mul_f64 v[74:75], v[74:75], s[34:35]
	v_add_f64 v[104:105], v[106:107], v[104:105]
	v_fma_f64 v[106:107], s[24:25], v[32:33], v[74:75]
	v_mul_f64 v[70:71], v[70:71], s[26:27]
	v_fmac_f64_e32 v[84:85], s[14:15], v[42:43]
	v_fma_f64 v[42:43], v[44:45], s[14:15], -v[46:47]
	v_add_f64 v[104:105], v[106:107], v[104:105]
	v_fma_f64 v[106:107], s[18:19], v[30:31], v[70:71]
	v_mul_f64 v[68:69], v[68:69], s[20:21]
	v_add_f64 v[0:1], v[42:43], v[0:1]
	v_fma_f64 v[34:35], v[34:35], s[12:13], -v[78:79]
	v_add_f64 v[104:105], v[106:107], v[104:105]
	v_fma_f64 v[106:107], s[4:5], v[28:29], v[68:69]
	v_add_f64 v[2:3], v[84:85], v[2:3]
	v_fmac_f64_e32 v[82:83], s[12:13], v[40:41]
	v_fma_f64 v[32:33], v[32:33], s[24:25], -v[74:75]
	v_add_f64 v[0:1], v[34:35], v[0:1]
	v_add_f64 v[104:105], v[106:107], v[104:105]
	v_mul_f64 v[106:107], v[66:67], s[16:17]
	v_fmac_f64_e32 v[80:81], s[24:25], v[38:39]
	v_add_f64 v[2:3], v[82:83], v[2:3]
	v_fma_f64 v[30:31], v[30:31], s[18:19], -v[70:71]
	v_add_f64 v[0:1], v[32:33], v[0:1]
	v_fma_f64 v[66:67], v[60:61], s[0:1], -v[106:107]
	v_fmac_f64_e32 v[76:77], s[18:19], v[36:37]
	v_add_f64 v[2:3], v[80:81], v[2:3]
	v_fma_f64 v[28:29], v[28:29], s[4:5], -v[68:69]
	v_add_f64 v[0:1], v[30:31], v[0:1]
	v_add_f64 v[66:67], v[66:67], v[102:103]
	v_mul_f64 v[102:103], v[64:65], s[16:17]
	v_fmac_f64_e32 v[72:73], s[4:5], v[62:63]
	v_add_f64 v[2:3], v[76:77], v[2:3]
	v_add_f64 v[0:1], v[28:29], v[0:1]
	v_mul_u32_u24_e32 v28, 0xd0, v54
	v_lshlrev_b32_e32 v29, 4, v55
	v_add_f64 v[96:97], v[96:97], v[94:95]
	v_fma_f64 v[94:95], s[14:15], v[58:59], v[122:123]
	v_fma_f64 v[64:65], s[0:1], v[58:59], v[102:103]
	v_fmac_f64_e32 v[106:107], s[0:1], v[60:61]
	v_add_f64 v[2:3], v[72:73], v[2:3]
	v_fma_f64 v[36:37], v[58:59], s[0:1], -v[102:103]
	v_add3_u32 v28, 0, v28, v29
	v_add_f64 v[94:95], v[94:95], v[118:119]
	v_add_f64 v[64:65], v[64:65], v[104:105]
	;; [unrolled: 1-line block ×4, first 2 shown]
	ds_write_b128 v28, v[4:7]
	ds_write_b128 v28, v[0:3] offset:16
	ds_write_b128 v28, v[98:101] offset:32
	;; [unrolled: 1-line block ×12, first 2 shown]
.LBB0_13:
	s_or_b64 exec, exec, s[2:3]
	s_waitcnt vmcnt(12)
	v_add_u32_e32 v0, -13, v54
	v_cmp_gt_u32_e64 s[0:1], 13, v54
	v_add_u32_e32 v2, 26, v54
	v_mov_b32_e32 v1, 0
	v_cndmask_b32_e64 v3, v0, v54, s[0:1]
	v_mul_i32_i24_e32 v0, 3, v3
	s_movk_i32 s0, 0x4f
	s_waitcnt vmcnt(11)
	v_lshl_add_u64 v[4:5], v[0:1], 4, s[8:9]
	v_mul_lo_u16_sdwa v0, v2, s0 dst_sel:DWORD dst_unused:UNUSED_PAD src0_sel:BYTE_0 src1_sel:DWORD
	v_lshrrev_b16_e32 v0, 10, v0
	s_load_dwordx2 s[2:3], s[10:11], 0x0
	s_waitcnt lgkmcnt(0)
	; wave barrier
	s_waitcnt lgkmcnt(0)
	global_load_dwordx4 v[6:9], v[4:5], off offset:16
	global_load_dwordx4 v[10:13], v[4:5], off
	global_load_dwordx4 v[14:17], v[4:5], off offset:32
	v_mul_lo_u16_e32 v4, 13, v0
	v_sub_u16_e32 v102, v2, v4
	v_mov_b32_e32 v4, 3
	v_mul_u32_u24_sdwa v5, v102, v4 dst_sel:DWORD dst_unused:UNUSED_PAD src0_sel:BYTE_0 src1_sel:DWORD
	v_lshlrev_b32_e32 v5, 4, v5
	global_load_dwordx4 v[18:21], v5, s[8:9] offset:32
	global_load_dwordx4 v[22:25], v5, s[8:9] offset:16
	global_load_dwordx4 v[26:29], v5, s[8:9]
	v_add_u16_e32 v5, 52, v54
	s_waitcnt vmcnt(11)
	v_mul_lo_u16_sdwa v30, v5, s0 dst_sel:DWORD dst_unused:UNUSED_PAD src0_sel:BYTE_0 src1_sel:DWORD
	v_lshrrev_b16_e32 v103, 10, v30
	v_mul_lo_u16_e32 v30, 13, v103
	v_sub_u16_e32 v104, v5, v30
	v_mul_u32_u24_sdwa v4, v104, v4 dst_sel:DWORD dst_unused:UNUSED_PAD src0_sel:BYTE_0 src1_sel:DWORD
	v_lshlrev_b32_e32 v4, 4, v4
	global_load_dwordx4 v[30:33], v4, s[8:9]
	global_load_dwordx4 v[34:37], v4, s[8:9] offset:16
	global_load_dwordx4 v[38:41], v4, s[8:9] offset:32
	v_lshlrev_b32_e32 v55, 4, v55
	v_lshlrev_b32_e32 v4, 4, v54
	v_add3_u32 v5, 0, v55, v4
	v_add3_u32 v4, 0, v4, v55
	s_waitcnt vmcnt(10)
	ds_read_b128 v[42:45], v5
	s_waitcnt vmcnt(9)
	ds_read_b128 v[46:49], v4 offset:416
	ds_read_b128 v[58:61], v4 offset:2496
	;; [unrolled: 1-line block ×11, first 2 shown]
	v_cmp_lt_u32_e64 s[0:1], 12, v54
	v_lshlrev_b32_e32 v3, 4, v3
	s_waitcnt lgkmcnt(0)
	; wave barrier
	s_waitcnt lgkmcnt(0)
	s_movk_i32 s4, 0x340
	v_mad_u32_u24 v0, v0, s4, 0
	s_mov_b32 s5, 0xbfebb67a
	s_waitcnt vmcnt(8)
	v_mul_f64 v[98:99], v[60:61], v[8:9]
	s_waitcnt vmcnt(7)
	v_mul_f64 v[50:51], v[68:69], v[12:13]
	v_mul_f64 v[12:13], v[66:67], v[12:13]
	;; [unrolled: 1-line block ×3, first 2 shown]
	s_waitcnt vmcnt(6)
	v_mul_f64 v[100:101], v[84:85], v[16:17]
	v_mul_f64 v[16:17], v[82:83], v[16:17]
	v_fma_f64 v[50:51], v[66:67], v[10:11], -v[50:51]
	v_fmac_f64_e32 v[12:13], v[68:69], v[10:11]
	v_fma_f64 v[10:11], v[58:59], v[6:7], -v[98:99]
	v_fmac_f64_e32 v[8:9], v[60:61], v[6:7]
	v_fmac_f64_e32 v[16:17], v[84:85], v[14:15]
	v_add_f64 v[58:59], v[42:43], -v[10:11]
	v_add_f64 v[60:61], v[44:45], -v[8:9]
	s_waitcnt vmcnt(3)
	v_mul_f64 v[8:9], v[76:77], v[28:29]
	v_mul_f64 v[28:29], v[74:75], v[28:29]
	v_mul_f64 v[10:11], v[64:65], v[24:25]
	v_fma_f64 v[6:7], v[82:83], v[14:15], -v[100:101]
	v_mul_f64 v[24:25], v[62:63], v[24:25]
	v_mul_f64 v[14:15], v[92:93], v[20:21]
	;; [unrolled: 1-line block ×3, first 2 shown]
	s_waitcnt vmcnt(2)
	v_mul_f64 v[20:21], v[80:81], v[32:33]
	v_mul_f64 v[68:69], v[78:79], v[32:33]
	s_waitcnt vmcnt(1)
	v_mul_f64 v[32:33], v[88:89], v[36:37]
	v_mul_f64 v[82:83], v[86:87], v[36:37]
	;; [unrolled: 3-line block ×3, first 2 shown]
	v_fma_f64 v[74:75], v[74:75], v[26:27], -v[8:9]
	v_fmac_f64_e32 v[28:29], v[76:77], v[26:27]
	v_fma_f64 v[26:27], v[62:63], v[22:23], -v[10:11]
	v_add_f64 v[16:17], v[12:13], -v[16:17]
	v_fmac_f64_e32 v[24:25], v[64:65], v[22:23]
	v_fma_f64 v[22:23], v[90:91], v[18:19], -v[14:15]
	v_fmac_f64_e32 v[66:67], v[92:93], v[18:19]
	v_fmac_f64_e32 v[68:69], v[80:81], v[30:31]
	v_fma_f64 v[64:65], v[86:87], v[34:35], -v[32:33]
	v_fmac_f64_e32 v[82:83], v[88:89], v[34:35]
	v_fmac_f64_e32 v[40:41], v[96:97], v[38:39]
	v_fma_f64 v[14:15], v[44:45], 2.0, -v[60:61]
	v_add_f64 v[18:19], v[50:51], -v[6:7]
	v_fma_f64 v[8:9], v[12:13], 2.0, -v[16:17]
	v_add_f64 v[34:35], v[46:47], -v[26:27]
	v_fma_f64 v[42:43], v[42:43], 2.0, -v[58:59]
	v_fma_f64 v[6:7], v[50:51], 2.0, -v[18:19]
	v_add_f64 v[8:9], v[14:15], -v[8:9]
	v_fma_f64 v[26:27], v[46:47], 2.0, -v[34:35]
	v_add_f64 v[50:51], v[70:71], -v[64:65]
	v_add_f64 v[46:47], v[68:69], -v[40:41]
	;; [unrolled: 1-line block ×3, first 2 shown]
	v_fma_f64 v[12:13], v[14:15], 2.0, -v[8:9]
	v_add_f64 v[14:15], v[58:59], -v[16:17]
	v_fma_f64 v[40:41], v[68:69], 2.0, -v[46:47]
	v_add_f64 v[46:47], v[50:51], -v[46:47]
	v_fma_f64 v[10:11], v[42:43], 2.0, -v[6:7]
	v_add_f64 v[16:17], v[60:61], v[18:19]
	v_fma_f64 v[18:19], v[58:59], 2.0, -v[14:15]
	v_fma_f64 v[42:43], v[70:71], 2.0, -v[50:51]
	;; [unrolled: 1-line block ×3, first 2 shown]
	v_mov_b32_e32 v50, 0x340
	v_cndmask_b32_e64 v50, 0, v50, s[0:1]
	v_add_u32_e32 v50, 0, v50
	v_fma_f64 v[76:77], v[94:95], v[38:39], -v[36:37]
	v_add_f64 v[36:37], v[48:49], -v[24:25]
	v_add_f64 v[32:33], v[74:75], -v[22:23]
	;; [unrolled: 1-line block ×3, first 2 shown]
	v_add3_u32 v3, v50, v3, v55
	v_fma_f64 v[62:63], v[78:79], v[30:31], -v[20:21]
	v_fma_f64 v[20:21], v[60:61], 2.0, -v[16:17]
	v_fma_f64 v[30:31], v[48:49], 2.0, -v[36:37]
	;; [unrolled: 1-line block ×4, first 2 shown]
	ds_write_b128 v3, v[10:13]
	ds_write_b128 v3, v[18:21] offset:208
	ds_write_b128 v3, v[6:9] offset:416
	;; [unrolled: 1-line block ×3, first 2 shown]
	v_mov_b32_e32 v3, 4
	v_add_f64 v[22:23], v[26:27], -v[22:23]
	v_add_f64 v[24:25], v[30:31], -v[24:25]
	;; [unrolled: 1-line block ×4, first 2 shown]
	v_lshlrev_b32_sdwa v6, v3, v102 dst_sel:DWORD dst_unused:UNUSED_PAD src0_sel:DWORD src1_sel:BYTE_0
	v_fma_f64 v[26:27], v[26:27], 2.0, -v[22:23]
	v_fma_f64 v[28:29], v[30:31], 2.0, -v[24:25]
	v_add_f64 v[30:31], v[34:35], -v[38:39]
	v_add_f64 v[32:33], v[36:37], v[32:33]
	v_fma_f64 v[44:45], v[72:73], 2.0, -v[60:61]
	v_fma_f64 v[38:39], v[62:63], 2.0, -v[48:49]
	v_add3_u32 v0, v0, v6, v55
	v_fma_f64 v[34:35], v[34:35], 2.0, -v[30:31]
	v_fma_f64 v[36:37], v[36:37], 2.0, -v[32:33]
	v_add_f64 v[38:39], v[42:43], -v[38:39]
	v_add_f64 v[40:41], v[44:45], -v[40:41]
	ds_write_b128 v0, v[26:29]
	ds_write_b128 v0, v[34:37] offset:208
	ds_write_b128 v0, v[22:25] offset:416
	;; [unrolled: 1-line block ×3, first 2 shown]
	v_mad_u32_u24 v0, v103, s4, 0
	v_lshlrev_b32_sdwa v3, v3, v104 dst_sel:DWORD dst_unused:UNUSED_PAD src0_sel:DWORD src1_sel:BYTE_0
	v_fma_f64 v[42:43], v[42:43], 2.0, -v[38:39]
	v_fma_f64 v[44:45], v[44:45], 2.0, -v[40:41]
	v_add_f64 v[48:49], v[60:61], v[48:49]
	v_add3_u32 v0, v0, v3, v55
	v_fma_f64 v[60:61], v[60:61], 2.0, -v[48:49]
	ds_write_b128 v0, v[42:45]
	ds_write_b128 v0, v[58:61] offset:208
	ds_write_b128 v0, v[38:41] offset:416
	;; [unrolled: 1-line block ×3, first 2 shown]
	v_lshlrev_b32_e32 v0, 1, v54
	v_lshl_add_u64 v[14:15], v[0:1], 4, s[8:9]
	s_waitcnt lgkmcnt(0)
	; wave barrier
	s_waitcnt lgkmcnt(0)
	global_load_dwordx4 v[6:9], v[14:15], off offset:624
	global_load_dwordx4 v[10:13], v[14:15], off offset:640
	v_lshlrev_b32_e32 v0, 1, v2
	v_lshl_add_u64 v[2:3], v[0:1], 4, s[8:9]
	global_load_dwordx4 v[14:17], v[2:3], off offset:624
	global_load_dwordx4 v[18:21], v[2:3], off offset:640
	ds_read_b128 v[22:25], v5
	ds_read_b128 v[26:29], v4 offset:416
	ds_read_b128 v[30:33], v4 offset:1664
	;; [unrolled: 1-line block ×11, first 2 shown]
	s_mov_b32 s0, 0xe8584caa
	s_mov_b32 s1, 0x3febb67a
	;; [unrolled: 1-line block ×3, first 2 shown]
	s_waitcnt lgkmcnt(0)
	; wave barrier
	s_waitcnt vmcnt(3) lgkmcnt(0)
	v_mul_f64 v[2:3], v[32:33], v[8:9]
	v_fma_f64 v[2:3], v[30:31], v[6:7], -v[2:3]
	v_mul_f64 v[30:31], v[30:31], v[8:9]
	v_fmac_f64_e32 v[30:31], v[32:33], v[6:7]
	s_waitcnt vmcnt(2)
	v_mul_f64 v[32:33], v[40:41], v[12:13]
	v_fma_f64 v[32:33], v[38:39], v[10:11], -v[32:33]
	v_mul_f64 v[38:39], v[38:39], v[12:13]
	v_fmac_f64_e32 v[38:39], v[40:41], v[10:11]
	s_waitcnt vmcnt(1)
	;; [unrolled: 5-line block ×3, first 2 shown]
	v_mul_f64 v[36:37], v[44:45], v[20:21]
	v_fma_f64 v[36:37], v[42:43], v[18:19], -v[36:37]
	v_mul_f64 v[42:43], v[42:43], v[20:21]
	v_fmac_f64_e32 v[42:43], v[44:45], v[18:19]
	v_mul_f64 v[44:45], v[64:65], v[8:9]
	v_mul_f64 v[50:51], v[62:63], v[8:9]
	v_fma_f64 v[44:45], v[62:63], v[6:7], -v[44:45]
	v_fmac_f64_e32 v[50:51], v[64:65], v[6:7]
	v_mul_f64 v[6:7], v[72:73], v[12:13]
	v_fma_f64 v[62:63], v[70:71], v[10:11], -v[6:7]
	v_mul_f64 v[6:7], v[68:69], v[16:17]
	v_mul_f64 v[64:65], v[70:71], v[12:13]
	v_fma_f64 v[70:71], v[66:67], v[14:15], -v[6:7]
	v_mul_f64 v[66:67], v[66:67], v[16:17]
	v_mul_f64 v[6:7], v[76:77], v[20:21]
	v_add_f64 v[8:9], v[2:3], v[32:33]
	v_fmac_f64_e32 v[66:67], v[68:69], v[14:15]
	v_fma_f64 v[68:69], v[74:75], v[18:19], -v[6:7]
	v_add_f64 v[6:7], v[22:23], v[2:3]
	v_fmac_f64_e32 v[22:23], -0.5, v[8:9]
	v_add_f64 v[8:9], v[30:31], -v[38:39]
	v_add_f64 v[12:13], v[30:31], v[38:39]
	v_fmac_f64_e32 v[64:65], v[72:73], v[10:11]
	v_fma_f64 v[10:11], s[0:1], v[8:9], v[22:23]
	v_fmac_f64_e32 v[22:23], s[4:5], v[8:9]
	v_add_f64 v[8:9], v[24:25], v[30:31]
	v_fmac_f64_e32 v[24:25], -0.5, v[12:13]
	v_add_f64 v[2:3], v[2:3], -v[32:33]
	v_fma_f64 v[12:13], s[4:5], v[2:3], v[24:25]
	v_fmac_f64_e32 v[24:25], s[0:1], v[2:3]
	v_add_f64 v[2:3], v[26:27], v[40:41]
	v_add_f64 v[14:15], v[2:3], v[36:37]
	;; [unrolled: 1-line block ×3, first 2 shown]
	v_mul_f64 v[72:73], v[74:75], v[20:21]
	v_fmac_f64_e32 v[26:27], -0.5, v[2:3]
	v_add_f64 v[2:3], v[34:35], -v[42:43]
	v_fmac_f64_e32 v[72:73], v[76:77], v[18:19]
	v_fma_f64 v[18:19], s[0:1], v[2:3], v[26:27]
	v_fmac_f64_e32 v[26:27], s[4:5], v[2:3]
	v_add_f64 v[2:3], v[28:29], v[34:35]
	v_add_f64 v[16:17], v[2:3], v[42:43]
	;; [unrolled: 1-line block ×3, first 2 shown]
	v_fmac_f64_e32 v[28:29], -0.5, v[2:3]
	v_add_f64 v[2:3], v[40:41], -v[36:37]
	v_fma_f64 v[20:21], s[4:5], v[2:3], v[28:29]
	v_fmac_f64_e32 v[28:29], s[0:1], v[2:3]
	v_add_f64 v[2:3], v[46:47], v[44:45]
	v_add_f64 v[30:31], v[2:3], v[62:63]
	v_add_f64 v[2:3], v[44:45], v[62:63]
	v_fmac_f64_e32 v[46:47], -0.5, v[2:3]
	v_add_f64 v[2:3], v[50:51], -v[64:65]
	v_fma_f64 v[34:35], s[0:1], v[2:3], v[46:47]
	v_fmac_f64_e32 v[46:47], s[4:5], v[2:3]
	v_add_f64 v[2:3], v[48:49], v[50:51]
	v_add_f64 v[6:7], v[6:7], v[32:33]
	v_add_f64 v[32:33], v[2:3], v[64:65]
	v_add_f64 v[2:3], v[50:51], v[64:65]
	v_fmac_f64_e32 v[48:49], -0.5, v[2:3]
	v_add_f64 v[2:3], v[44:45], -v[62:63]
	v_fma_f64 v[36:37], s[4:5], v[2:3], v[48:49]
	v_fmac_f64_e32 v[48:49], s[0:1], v[2:3]
	v_add_f64 v[2:3], v[58:59], v[70:71]
	;; [unrolled: 8-line block ×3, first 2 shown]
	v_add_f64 v[40:41], v[2:3], v[72:73]
	v_add_f64 v[2:3], v[66:67], v[72:73]
	v_fmac_f64_e32 v[60:61], -0.5, v[2:3]
	v_add_f64 v[2:3], v[70:71], -v[68:69]
	v_fma_f64 v[44:45], s[4:5], v[2:3], v[60:61]
	v_fmac_f64_e32 v[60:61], s[0:1], v[2:3]
	ds_write_b128 v4, v[6:9]
	ds_write_b128 v4, v[10:13] offset:832
	ds_write_b128 v4, v[22:25] offset:1664
	;; [unrolled: 1-line block ×11, first 2 shown]
	s_waitcnt lgkmcnt(0)
	; wave barrier
	s_waitcnt lgkmcnt(0)
	s_and_saveexec_b64 s[0:1], vcc
	s_cbranch_execz .LBB0_15
; %bb.14:
	v_mov_b32_e32 v55, v1
	v_lshlrev_b64 v[2:3], 4, v[54:55]
	v_lshl_add_u64 v[30:31], s[8:9], 0, v[2:3]
	s_movk_i32 s0, 0x1000
	global_load_dwordx4 v[6:9], v[30:31], off offset:3536
	global_load_dwordx4 v[10:13], v[30:31], off offset:3120
	;; [unrolled: 1-line block ×4, first 2 shown]
	v_add_co_u32_e32 v32, vcc, s0, v30
	v_mul_lo_u32 v0, s3, v56
	s_nop 0
	v_addc_co_u32_e32 v33, vcc, 0, v31, vcc
	global_load_dwordx4 v[22:25], v[32:33], off offset:272
	global_load_dwordx4 v[26:29], v[30:31], off offset:3952
	v_mul_lo_u32 v55, s2, v57
	v_mad_u64_u32 v[50:51], s[0:1], s2, v56, 0
	ds_read_b128 v[30:33], v4 offset:2080
	ds_read_b128 v[34:37], v4 offset:1664
	;; [unrolled: 1-line block ×9, first 2 shown]
	ds_read_b128 v[72:75], v5
	ds_read_b128 v[76:79], v4 offset:2912
	ds_read_b128 v[80:83], v4 offset:2496
	v_add3_u32 v51, v51, v55, v0
	v_lshl_add_u64 v[4:5], v[50:51], 4, s[6:7]
	v_lshl_add_u64 v[4:5], v[52:53], 4, v[4:5]
	v_add_u32_e32 v0, 0x68, v54
	v_lshl_add_u64 v[50:51], v[4:5], 0, v[2:3]
	v_lshrrev_b32_e32 v0, 2, v0
	s_mov_b32 s2, 0x34834835
	v_mul_hi_u32 v0, v0, s2
	v_lshrrev_b32_e32 v0, 3, v0
	s_movk_i32 s3, 0x9c
	v_mul_lo_u32 v0, v0, s3
	s_mov_b64 s[0:1], 0x680
	s_waitcnt vmcnt(5) lgkmcnt(5)
	v_mul_f64 v[2:3], v[6:7], v[62:63]
	v_mul_f64 v[4:5], v[8:9], v[62:63]
	s_waitcnt vmcnt(4) lgkmcnt(4)
	v_mul_f64 v[52:53], v[10:11], v[66:67]
	v_mul_f64 v[62:63], v[12:13], v[66:67]
	;; [unrolled: 3-line block ×4, first 2 shown]
	v_fmac_f64_e32 v[2:3], v[8:9], v[60:61]
	v_fma_f64 v[6:7], v[60:61], v[6:7], -v[4:5]
	v_fma_f64 v[10:11], v[64:65], v[10:11], -v[62:63]
	;; [unrolled: 1-line block ×3, first 2 shown]
	v_fmac_f64_e32 v[84:85], v[20:21], v[80:81]
	v_fma_f64 v[18:19], v[80:81], v[18:19], -v[82:83]
	v_fmac_f64_e32 v[52:53], v[12:13], v[64:65]
	v_fmac_f64_e32 v[66:67], v[16:17], v[76:77]
	s_waitcnt vmcnt(1)
	v_mul_f64 v[60:61], v[22:23], v[40:41]
	v_mul_f64 v[20:21], v[24:25], v[40:41]
	s_waitcnt vmcnt(0)
	v_mul_f64 v[62:63], v[26:27], v[44:45]
	v_mul_f64 v[40:41], v[28:29], v[44:45]
	v_add_f64 v[4:5], v[48:49], -v[2:3]
	v_add_f64 v[2:3], v[46:47], -v[6:7]
	;; [unrolled: 1-line block ×8, first 2 shown]
	v_fmac_f64_e32 v[60:61], v[24:25], v[38:39]
	v_fma_f64 v[44:45], v[38:39], v[22:23], -v[20:21]
	v_fmac_f64_e32 v[62:63], v[28:29], v[42:43]
	v_fma_f64 v[42:43], v[42:43], v[26:27], -v[40:41]
	v_fma_f64 v[20:21], v[48:49], 2.0, -v[4:5]
	v_fma_f64 v[18:19], v[46:47], 2.0, -v[2:3]
	;; [unrolled: 1-line block ×8, first 2 shown]
	global_store_dwordx4 v[50:51], v[14:17], off offset:2496
	global_store_dwordx4 v[50:51], v[10:13], off offset:2912
	;; [unrolled: 1-line block ×3, first 2 shown]
	global_store_dwordx4 v[50:51], v[38:41], off
	global_store_dwordx4 v[50:51], v[26:29], off offset:416
	global_store_dwordx4 v[50:51], v[22:25], off offset:832
	;; [unrolled: 1-line block ×4, first 2 shown]
	v_add_f64 v[8:9], v[32:33], -v[60:61]
	v_add_f64 v[6:7], v[30:31], -v[44:45]
	v_lshl_add_u64 v[2:3], v[0:1], 4, v[50:51]
	v_add_u32_e32 v0, 0x82, v54
	v_lshrrev_b32_e32 v0, 2, v0
	v_mul_hi_u32 v0, v0, s2
	v_lshrrev_b32_e32 v0, 3, v0
	v_add_f64 v[12:13], v[36:37], -v[62:63]
	v_add_f64 v[10:11], v[34:35], -v[42:43]
	v_mul_lo_u32 v0, v0, s3
	v_fma_f64 v[16:17], v[32:33], 2.0, -v[8:9]
	v_fma_f64 v[14:15], v[30:31], 2.0, -v[6:7]
	v_fma_f64 v[24:25], v[36:37], 2.0, -v[12:13]
	v_fma_f64 v[22:23], v[34:35], 2.0, -v[10:11]
	v_lshl_add_u64 v[4:5], v[2:3], 0, s[0:1]
	v_lshl_add_u64 v[0:1], v[0:1], 4, v[50:51]
	s_mov_b64 s[0:1], 0x820
	global_store_dwordx4 v[2:3], v[22:25], off offset:1664
	global_store_dwordx4 v[4:5], v[10:13], off offset:2496
	v_lshl_add_u64 v[2:3], v[0:1], 0, s[0:1]
	global_store_dwordx4 v[0:1], v[14:17], off offset:2080
	global_store_dwordx4 v[2:3], v[6:9], off offset:2496
.LBB0_15:
	s_endpgm
	.section	.rodata,"a",@progbits
	.p2align	6, 0x0
	.amdhsa_kernel fft_rtc_fwd_len312_factors_13_4_3_2_wgs_52_tpt_26_dp_op_CI_CI_unitstride_sbrr_dirReg
		.amdhsa_group_segment_fixed_size 0
		.amdhsa_private_segment_fixed_size 0
		.amdhsa_kernarg_size 104
		.amdhsa_user_sgpr_count 2
		.amdhsa_user_sgpr_dispatch_ptr 0
		.amdhsa_user_sgpr_queue_ptr 0
		.amdhsa_user_sgpr_kernarg_segment_ptr 1
		.amdhsa_user_sgpr_dispatch_id 0
		.amdhsa_user_sgpr_kernarg_preload_length 0
		.amdhsa_user_sgpr_kernarg_preload_offset 0
		.amdhsa_user_sgpr_private_segment_size 0
		.amdhsa_uses_dynamic_stack 0
		.amdhsa_enable_private_segment 0
		.amdhsa_system_sgpr_workgroup_id_x 1
		.amdhsa_system_sgpr_workgroup_id_y 0
		.amdhsa_system_sgpr_workgroup_id_z 0
		.amdhsa_system_sgpr_workgroup_info 0
		.amdhsa_system_vgpr_workitem_id 0
		.amdhsa_next_free_vgpr 124
		.amdhsa_next_free_sgpr 42
		.amdhsa_accum_offset 124
		.amdhsa_reserve_vcc 1
		.amdhsa_float_round_mode_32 0
		.amdhsa_float_round_mode_16_64 0
		.amdhsa_float_denorm_mode_32 3
		.amdhsa_float_denorm_mode_16_64 3
		.amdhsa_dx10_clamp 1
		.amdhsa_ieee_mode 1
		.amdhsa_fp16_overflow 0
		.amdhsa_tg_split 0
		.amdhsa_exception_fp_ieee_invalid_op 0
		.amdhsa_exception_fp_denorm_src 0
		.amdhsa_exception_fp_ieee_div_zero 0
		.amdhsa_exception_fp_ieee_overflow 0
		.amdhsa_exception_fp_ieee_underflow 0
		.amdhsa_exception_fp_ieee_inexact 0
		.amdhsa_exception_int_div_zero 0
	.end_amdhsa_kernel
	.text
.Lfunc_end0:
	.size	fft_rtc_fwd_len312_factors_13_4_3_2_wgs_52_tpt_26_dp_op_CI_CI_unitstride_sbrr_dirReg, .Lfunc_end0-fft_rtc_fwd_len312_factors_13_4_3_2_wgs_52_tpt_26_dp_op_CI_CI_unitstride_sbrr_dirReg
                                        ; -- End function
	.section	.AMDGPU.csdata,"",@progbits
; Kernel info:
; codeLenInByte = 8032
; NumSgprs: 48
; NumVgprs: 124
; NumAgprs: 0
; TotalNumVgprs: 124
; ScratchSize: 0
; MemoryBound: 1
; FloatMode: 240
; IeeeMode: 1
; LDSByteSize: 0 bytes/workgroup (compile time only)
; SGPRBlocks: 5
; VGPRBlocks: 15
; NumSGPRsForWavesPerEU: 48
; NumVGPRsForWavesPerEU: 124
; AccumOffset: 124
; Occupancy: 4
; WaveLimiterHint : 1
; COMPUTE_PGM_RSRC2:SCRATCH_EN: 0
; COMPUTE_PGM_RSRC2:USER_SGPR: 2
; COMPUTE_PGM_RSRC2:TRAP_HANDLER: 0
; COMPUTE_PGM_RSRC2:TGID_X_EN: 1
; COMPUTE_PGM_RSRC2:TGID_Y_EN: 0
; COMPUTE_PGM_RSRC2:TGID_Z_EN: 0
; COMPUTE_PGM_RSRC2:TIDIG_COMP_CNT: 0
; COMPUTE_PGM_RSRC3_GFX90A:ACCUM_OFFSET: 30
; COMPUTE_PGM_RSRC3_GFX90A:TG_SPLIT: 0
	.text
	.p2alignl 6, 3212836864
	.fill 256, 4, 3212836864
	.type	__hip_cuid_8e968c0ac59629c6,@object ; @__hip_cuid_8e968c0ac59629c6
	.section	.bss,"aw",@nobits
	.globl	__hip_cuid_8e968c0ac59629c6
__hip_cuid_8e968c0ac59629c6:
	.byte	0                               ; 0x0
	.size	__hip_cuid_8e968c0ac59629c6, 1

	.ident	"AMD clang version 19.0.0git (https://github.com/RadeonOpenCompute/llvm-project roc-6.4.0 25133 c7fe45cf4b819c5991fe208aaa96edf142730f1d)"
	.section	".note.GNU-stack","",@progbits
	.addrsig
	.addrsig_sym __hip_cuid_8e968c0ac59629c6
	.amdgpu_metadata
---
amdhsa.kernels:
  - .agpr_count:     0
    .args:
      - .actual_access:  read_only
        .address_space:  global
        .offset:         0
        .size:           8
        .value_kind:     global_buffer
      - .offset:         8
        .size:           8
        .value_kind:     by_value
      - .actual_access:  read_only
        .address_space:  global
        .offset:         16
        .size:           8
        .value_kind:     global_buffer
      - .actual_access:  read_only
        .address_space:  global
        .offset:         24
        .size:           8
        .value_kind:     global_buffer
      - .actual_access:  read_only
        .address_space:  global
        .offset:         32
        .size:           8
        .value_kind:     global_buffer
      - .offset:         40
        .size:           8
        .value_kind:     by_value
      - .actual_access:  read_only
        .address_space:  global
        .offset:         48
        .size:           8
        .value_kind:     global_buffer
      - .actual_access:  read_only
        .address_space:  global
        .offset:         56
        .size:           8
        .value_kind:     global_buffer
      - .offset:         64
        .size:           4
        .value_kind:     by_value
      - .actual_access:  read_only
        .address_space:  global
        .offset:         72
        .size:           8
        .value_kind:     global_buffer
      - .actual_access:  read_only
        .address_space:  global
        .offset:         80
        .size:           8
        .value_kind:     global_buffer
      - .actual_access:  read_only
        .address_space:  global
        .offset:         88
        .size:           8
        .value_kind:     global_buffer
      - .actual_access:  write_only
        .address_space:  global
        .offset:         96
        .size:           8
        .value_kind:     global_buffer
    .group_segment_fixed_size: 0
    .kernarg_segment_align: 8
    .kernarg_segment_size: 104
    .language:       OpenCL C
    .language_version:
      - 2
      - 0
    .max_flat_workgroup_size: 52
    .name:           fft_rtc_fwd_len312_factors_13_4_3_2_wgs_52_tpt_26_dp_op_CI_CI_unitstride_sbrr_dirReg
    .private_segment_fixed_size: 0
    .sgpr_count:     48
    .sgpr_spill_count: 0
    .symbol:         fft_rtc_fwd_len312_factors_13_4_3_2_wgs_52_tpt_26_dp_op_CI_CI_unitstride_sbrr_dirReg.kd
    .uniform_work_group_size: 1
    .uses_dynamic_stack: false
    .vgpr_count:     124
    .vgpr_spill_count: 0
    .wavefront_size: 64
amdhsa.target:   amdgcn-amd-amdhsa--gfx950
amdhsa.version:
  - 1
  - 2
...

	.end_amdgpu_metadata
